;; amdgpu-corpus repo=ROCm/rocFFT kind=compiled arch=gfx1030 opt=O3
	.text
	.amdgcn_target "amdgcn-amd-amdhsa--gfx1030"
	.amdhsa_code_object_version 6
	.protected	fft_rtc_back_len1386_factors_2_7_3_11_3_wgs_231_tpt_231_halfLds_dp_ip_CI_unitstride_sbrr_R2C_dirReg ; -- Begin function fft_rtc_back_len1386_factors_2_7_3_11_3_wgs_231_tpt_231_halfLds_dp_ip_CI_unitstride_sbrr_R2C_dirReg
	.globl	fft_rtc_back_len1386_factors_2_7_3_11_3_wgs_231_tpt_231_halfLds_dp_ip_CI_unitstride_sbrr_R2C_dirReg
	.p2align	8
	.type	fft_rtc_back_len1386_factors_2_7_3_11_3_wgs_231_tpt_231_halfLds_dp_ip_CI_unitstride_sbrr_R2C_dirReg,@function
fft_rtc_back_len1386_factors_2_7_3_11_3_wgs_231_tpt_231_halfLds_dp_ip_CI_unitstride_sbrr_R2C_dirReg: ; @fft_rtc_back_len1386_factors_2_7_3_11_3_wgs_231_tpt_231_halfLds_dp_ip_CI_unitstride_sbrr_R2C_dirReg
; %bb.0:
	s_clause 0x2
	s_load_dwordx4 s[8:11], s[4:5], 0x0
	s_load_dwordx2 s[2:3], s[4:5], 0x50
	s_load_dwordx2 s[12:13], s[4:5], 0x18
	v_mul_u32_u24_e32 v1, 0x11c, v0
	v_mov_b32_e32 v3, 0
	v_add_nc_u32_sdwa v5, s6, v1 dst_sel:DWORD dst_unused:UNUSED_PAD src0_sel:DWORD src1_sel:WORD_1
	v_mov_b32_e32 v1, 0
	v_mov_b32_e32 v6, v3
	v_mov_b32_e32 v2, 0
	s_waitcnt lgkmcnt(0)
	v_cmp_lt_u64_e64 s0, s[10:11], 2
	s_and_b32 vcc_lo, exec_lo, s0
	s_cbranch_vccnz .LBB0_8
; %bb.1:
	s_load_dwordx2 s[0:1], s[4:5], 0x10
	v_mov_b32_e32 v1, 0
	s_add_u32 s6, s12, 8
	v_mov_b32_e32 v2, 0
	s_addc_u32 s7, s13, 0
	s_mov_b64 s[16:17], 1
	s_waitcnt lgkmcnt(0)
	s_add_u32 s14, s0, 8
	s_addc_u32 s15, s1, 0
.LBB0_2:                                ; =>This Inner Loop Header: Depth=1
	s_load_dwordx2 s[18:19], s[14:15], 0x0
                                        ; implicit-def: $vgpr7_vgpr8
	s_mov_b32 s0, exec_lo
	s_waitcnt lgkmcnt(0)
	v_or_b32_e32 v4, s19, v6
	v_cmpx_ne_u64_e32 0, v[3:4]
	s_xor_b32 s1, exec_lo, s0
	s_cbranch_execz .LBB0_4
; %bb.3:                                ;   in Loop: Header=BB0_2 Depth=1
	v_cvt_f32_u32_e32 v4, s18
	v_cvt_f32_u32_e32 v7, s19
	s_sub_u32 s0, 0, s18
	s_subb_u32 s20, 0, s19
	v_fmac_f32_e32 v4, 0x4f800000, v7
	v_rcp_f32_e32 v4, v4
	v_mul_f32_e32 v4, 0x5f7ffffc, v4
	v_mul_f32_e32 v7, 0x2f800000, v4
	v_trunc_f32_e32 v7, v7
	v_fmac_f32_e32 v4, 0xcf800000, v7
	v_cvt_u32_f32_e32 v7, v7
	v_cvt_u32_f32_e32 v4, v4
	v_mul_lo_u32 v8, s0, v7
	v_mul_hi_u32 v9, s0, v4
	v_mul_lo_u32 v10, s20, v4
	v_add_nc_u32_e32 v8, v9, v8
	v_mul_lo_u32 v9, s0, v4
	v_add_nc_u32_e32 v8, v8, v10
	v_mul_hi_u32 v10, v4, v9
	v_mul_lo_u32 v11, v4, v8
	v_mul_hi_u32 v12, v4, v8
	v_mul_hi_u32 v13, v7, v9
	v_mul_lo_u32 v9, v7, v9
	v_mul_hi_u32 v14, v7, v8
	v_mul_lo_u32 v8, v7, v8
	v_add_co_u32 v10, vcc_lo, v10, v11
	v_add_co_ci_u32_e32 v11, vcc_lo, 0, v12, vcc_lo
	v_add_co_u32 v9, vcc_lo, v10, v9
	v_add_co_ci_u32_e32 v9, vcc_lo, v11, v13, vcc_lo
	v_add_co_ci_u32_e32 v10, vcc_lo, 0, v14, vcc_lo
	v_add_co_u32 v8, vcc_lo, v9, v8
	v_add_co_ci_u32_e32 v9, vcc_lo, 0, v10, vcc_lo
	v_add_co_u32 v4, vcc_lo, v4, v8
	v_add_co_ci_u32_e32 v7, vcc_lo, v7, v9, vcc_lo
	v_mul_hi_u32 v8, s0, v4
	v_mul_lo_u32 v10, s20, v4
	v_mul_lo_u32 v9, s0, v7
	v_add_nc_u32_e32 v8, v8, v9
	v_mul_lo_u32 v9, s0, v4
	v_add_nc_u32_e32 v8, v8, v10
	v_mul_hi_u32 v10, v4, v9
	v_mul_lo_u32 v11, v4, v8
	v_mul_hi_u32 v12, v4, v8
	v_mul_hi_u32 v13, v7, v9
	v_mul_lo_u32 v9, v7, v9
	v_mul_hi_u32 v14, v7, v8
	v_mul_lo_u32 v8, v7, v8
	v_add_co_u32 v10, vcc_lo, v10, v11
	v_add_co_ci_u32_e32 v11, vcc_lo, 0, v12, vcc_lo
	v_add_co_u32 v9, vcc_lo, v10, v9
	v_add_co_ci_u32_e32 v9, vcc_lo, v11, v13, vcc_lo
	v_add_co_ci_u32_e32 v10, vcc_lo, 0, v14, vcc_lo
	v_add_co_u32 v8, vcc_lo, v9, v8
	v_add_co_ci_u32_e32 v9, vcc_lo, 0, v10, vcc_lo
	v_add_co_u32 v4, vcc_lo, v4, v8
	v_add_co_ci_u32_e32 v11, vcc_lo, v7, v9, vcc_lo
	v_mul_hi_u32 v13, v5, v4
	v_mad_u64_u32 v[9:10], null, v6, v4, 0
	v_mad_u64_u32 v[7:8], null, v5, v11, 0
	;; [unrolled: 1-line block ×3, first 2 shown]
	v_add_co_u32 v4, vcc_lo, v13, v7
	v_add_co_ci_u32_e32 v7, vcc_lo, 0, v8, vcc_lo
	v_add_co_u32 v4, vcc_lo, v4, v9
	v_add_co_ci_u32_e32 v4, vcc_lo, v7, v10, vcc_lo
	v_add_co_ci_u32_e32 v7, vcc_lo, 0, v12, vcc_lo
	v_add_co_u32 v4, vcc_lo, v4, v11
	v_add_co_ci_u32_e32 v9, vcc_lo, 0, v7, vcc_lo
	v_mul_lo_u32 v10, s19, v4
	v_mad_u64_u32 v[7:8], null, s18, v4, 0
	v_mul_lo_u32 v11, s18, v9
	v_sub_co_u32 v7, vcc_lo, v5, v7
	v_add3_u32 v8, v8, v11, v10
	v_sub_nc_u32_e32 v10, v6, v8
	v_subrev_co_ci_u32_e64 v10, s0, s19, v10, vcc_lo
	v_add_co_u32 v11, s0, v4, 2
	v_add_co_ci_u32_e64 v12, s0, 0, v9, s0
	v_sub_co_u32 v13, s0, v7, s18
	v_sub_co_ci_u32_e32 v8, vcc_lo, v6, v8, vcc_lo
	v_subrev_co_ci_u32_e64 v10, s0, 0, v10, s0
	v_cmp_le_u32_e32 vcc_lo, s18, v13
	v_cmp_eq_u32_e64 s0, s19, v8
	v_cndmask_b32_e64 v13, 0, -1, vcc_lo
	v_cmp_le_u32_e32 vcc_lo, s19, v10
	v_cndmask_b32_e64 v14, 0, -1, vcc_lo
	v_cmp_le_u32_e32 vcc_lo, s18, v7
	;; [unrolled: 2-line block ×3, first 2 shown]
	v_cndmask_b32_e64 v15, 0, -1, vcc_lo
	v_cmp_eq_u32_e32 vcc_lo, s19, v10
	v_cndmask_b32_e64 v7, v15, v7, s0
	v_cndmask_b32_e32 v10, v14, v13, vcc_lo
	v_add_co_u32 v13, vcc_lo, v4, 1
	v_add_co_ci_u32_e32 v14, vcc_lo, 0, v9, vcc_lo
	v_cmp_ne_u32_e32 vcc_lo, 0, v10
	v_cndmask_b32_e32 v8, v14, v12, vcc_lo
	v_cndmask_b32_e32 v10, v13, v11, vcc_lo
	v_cmp_ne_u32_e32 vcc_lo, 0, v7
	v_cndmask_b32_e32 v8, v9, v8, vcc_lo
	v_cndmask_b32_e32 v7, v4, v10, vcc_lo
.LBB0_4:                                ;   in Loop: Header=BB0_2 Depth=1
	s_andn2_saveexec_b32 s0, s1
	s_cbranch_execz .LBB0_6
; %bb.5:                                ;   in Loop: Header=BB0_2 Depth=1
	v_cvt_f32_u32_e32 v4, s18
	s_sub_i32 s1, 0, s18
	v_rcp_iflag_f32_e32 v4, v4
	v_mul_f32_e32 v4, 0x4f7ffffe, v4
	v_cvt_u32_f32_e32 v4, v4
	v_mul_lo_u32 v7, s1, v4
	v_mul_hi_u32 v7, v4, v7
	v_add_nc_u32_e32 v4, v4, v7
	v_mul_hi_u32 v4, v5, v4
	v_mul_lo_u32 v7, v4, s18
	v_add_nc_u32_e32 v8, 1, v4
	v_sub_nc_u32_e32 v7, v5, v7
	v_subrev_nc_u32_e32 v9, s18, v7
	v_cmp_le_u32_e32 vcc_lo, s18, v7
	v_cndmask_b32_e32 v7, v7, v9, vcc_lo
	v_cndmask_b32_e32 v4, v4, v8, vcc_lo
	v_cmp_le_u32_e32 vcc_lo, s18, v7
	v_add_nc_u32_e32 v8, 1, v4
	v_cndmask_b32_e32 v7, v4, v8, vcc_lo
	v_mov_b32_e32 v8, v3
.LBB0_6:                                ;   in Loop: Header=BB0_2 Depth=1
	s_or_b32 exec_lo, exec_lo, s0
	s_load_dwordx2 s[0:1], s[6:7], 0x0
	v_mul_lo_u32 v4, v8, s18
	v_mul_lo_u32 v11, v7, s19
	v_mad_u64_u32 v[9:10], null, v7, s18, 0
	s_add_u32 s16, s16, 1
	s_addc_u32 s17, s17, 0
	s_add_u32 s6, s6, 8
	s_addc_u32 s7, s7, 0
	;; [unrolled: 2-line block ×3, first 2 shown]
	v_add3_u32 v4, v10, v11, v4
	v_sub_co_u32 v5, vcc_lo, v5, v9
	v_sub_co_ci_u32_e32 v4, vcc_lo, v6, v4, vcc_lo
	s_waitcnt lgkmcnt(0)
	v_mul_lo_u32 v6, s1, v5
	v_mul_lo_u32 v4, s0, v4
	v_mad_u64_u32 v[1:2], null, s0, v5, v[1:2]
	v_cmp_ge_u64_e64 s0, s[16:17], s[10:11]
	s_and_b32 vcc_lo, exec_lo, s0
	v_add3_u32 v2, v6, v2, v4
	s_cbranch_vccnz .LBB0_9
; %bb.7:                                ;   in Loop: Header=BB0_2 Depth=1
	v_mov_b32_e32 v5, v7
	v_mov_b32_e32 v6, v8
	s_branch .LBB0_2
.LBB0_8:
	v_mov_b32_e32 v8, v6
	v_mov_b32_e32 v7, v5
.LBB0_9:
	s_lshl_b64 s[0:1], s[10:11], 3
	v_mul_hi_u32 v3, 0x11bb4a5, v0
	s_add_u32 s0, s12, s0
	s_addc_u32 s1, s13, s1
	s_load_dwordx2 s[0:1], s[0:1], 0x0
	s_load_dwordx2 s[4:5], s[4:5], 0x20
	v_mul_u32_u24_e32 v3, 0xe7, v3
	v_sub_nc_u32_e32 v52, v0, v3
	v_add_nc_u32_e32 v54, 0xe7, v52
	v_add_nc_u32_e32 v58, 0x1ce, v52
	s_waitcnt lgkmcnt(0)
	v_mul_lo_u32 v4, s0, v8
	v_mul_lo_u32 v5, s1, v7
	v_mad_u64_u32 v[1:2], null, s0, v7, v[1:2]
	v_cmp_gt_u64_e32 vcc_lo, s[4:5], v[7:8]
	v_cmp_le_u64_e64 s0, s[4:5], v[7:8]
	v_add3_u32 v2, v5, v2, v4
	s_and_saveexec_b32 s1, s0
	s_xor_b32 s0, exec_lo, s1
; %bb.10:
	v_add_nc_u32_e32 v54, 0xe7, v52
	v_add_nc_u32_e32 v58, 0x1ce, v52
; %bb.11:
	s_or_saveexec_b32 s1, s0
	v_lshlrev_b64 v[56:57], 4, v[1:2]
	s_xor_b32 exec_lo, exec_lo, s1
	s_cbranch_execz .LBB0_13
; %bb.12:
	v_mov_b32_e32 v53, 0
	v_add_co_u32 v2, s0, s2, v56
	v_add_co_ci_u32_e64 v3, s0, s3, v57, s0
	v_lshlrev_b64 v[0:1], 4, v[52:53]
	v_lshl_add_u32 v24, v52, 4, 0
	v_add_co_u32 v0, s0, v2, v0
	v_add_co_ci_u32_e64 v1, s0, v3, v1, s0
	v_add_co_u32 v4, s0, 0x800, v0
	v_add_co_ci_u32_e64 v5, s0, 0, v1, s0
	;; [unrolled: 2-line block ×6, first 2 shown]
	s_clause 0x5
	global_load_dwordx4 v[0:3], v[0:1], off
	global_load_dwordx4 v[4:7], v[4:5], off offset:1648
	global_load_dwordx4 v[8:11], v[8:9], off offset:1248
	;; [unrolled: 1-line block ×5, first 2 shown]
	s_waitcnt vmcnt(5)
	ds_write_b128 v24, v[0:3]
	s_waitcnt vmcnt(4)
	ds_write_b128 v24, v[4:7] offset:3696
	s_waitcnt vmcnt(3)
	ds_write_b128 v24, v[8:11] offset:7392
	;; [unrolled: 2-line block ×5, first 2 shown]
.LBB0_13:
	s_or_b32 exec_lo, exec_lo, s1
	v_lshlrev_b32_e32 v53, 4, v52
	s_waitcnt lgkmcnt(0)
	s_barrier
	buffer_gl0_inv
	v_lshl_add_u32 v55, v58, 5, 0
	v_add_nc_u32_e32 v74, 0, v53
	v_cmp_gt_u32_e64 s0, 0xc6, v52
	ds_read_b128 v[0:3], v74 offset:11088
	ds_read_b128 v[12:15], v74
	ds_read_b128 v[16:19], v74 offset:3696
	ds_read_b128 v[8:11], v74 offset:14784
	;; [unrolled: 1-line block ×4, first 2 shown]
	s_waitcnt lgkmcnt(0)
	s_barrier
	buffer_gl0_inv
	v_add_f64 v[4:5], v[12:13], -v[0:1]
	v_add_f64 v[6:7], v[14:15], -v[2:3]
	;; [unrolled: 1-line block ×6, first 2 shown]
	v_fma_f64 v[0:1], v[12:13], 2.0, -v[4:5]
	v_fma_f64 v[2:3], v[14:15], 2.0, -v[6:7]
	;; [unrolled: 1-line block ×6, first 2 shown]
	v_lshl_add_u32 v24, v54, 5, 0
	v_add_nc_u32_e32 v25, v74, v53
                                        ; implicit-def: $vgpr26_vgpr27
	ds_write_b128 v25, v[4:7] offset:16
	ds_write_b128 v24, v[8:11] offset:16
	;; [unrolled: 1-line block ×3, first 2 shown]
	ds_write_b128 v25, v[0:3]
	ds_write_b128 v24, v[12:15]
	;; [unrolled: 1-line block ×3, first 2 shown]
	s_waitcnt lgkmcnt(0)
	s_barrier
	buffer_gl0_inv
	s_and_saveexec_b32 s1, s0
	s_cbranch_execz .LBB0_15
; %bb.14:
	ds_read_b128 v[0:3], v74
	ds_read_b128 v[4:7], v74 offset:3168
	ds_read_b128 v[12:15], v74 offset:6336
	;; [unrolled: 1-line block ×6, first 2 shown]
.LBB0_15:
	s_or_b32 exec_lo, exec_lo, s1
	v_and_b32_e32 v63, 1, v52
	s_mov_b32 s4, 0x37e14327
	s_mov_b32 s6, 0xb247c609
	;; [unrolled: 1-line block ×4, first 2 shown]
	v_mul_u32_u24_e32 v28, 6, v63
	s_mov_b32 s10, 0xaaaaaaaa
	s_mov_b32 s11, 0xbff2aaaa
	v_lshlrev_b32_e32 v48, 4, v28
	s_clause 0x5
	global_load_dwordx4 v[28:31], v48, s[8:9]
	global_load_dwordx4 v[32:35], v48, s[8:9] offset:16
	global_load_dwordx4 v[36:39], v48, s[8:9] offset:80
	;; [unrolled: 1-line block ×5, first 2 shown]
	s_waitcnt vmcnt(0) lgkmcnt(0)
	s_barrier
	buffer_gl0_inv
	v_mul_f64 v[59:60], v[6:7], v[30:31]
	v_mul_f64 v[30:31], v[4:5], v[30:31]
	;; [unrolled: 1-line block ×12, first 2 shown]
	v_fma_f64 v[59:60], v[4:5], v[28:29], v[59:60]
	v_fma_f64 v[6:7], v[6:7], v[28:29], -v[30:31]
	v_fma_f64 v[12:13], v[12:13], v[32:33], v[61:62]
	v_fma_f64 v[30:31], v[14:15], v[32:33], -v[34:35]
	;; [unrolled: 2-line block ×6, first 2 shown]
	v_add_f64 v[4:5], v[59:60], v[24:25]
	v_add_f64 v[10:11], v[6:7], v[26:27]
	;; [unrolled: 1-line block ×4, first 2 shown]
	v_add_f64 v[16:17], v[59:60], -v[24:25]
	v_add_f64 v[6:7], v[6:7], -v[26:27]
	v_add_f64 v[24:25], v[28:29], v[34:35]
	v_add_f64 v[26:27], v[32:33], v[18:19]
	v_add_f64 v[34:35], v[34:35], -v[28:29]
	v_add_f64 v[18:19], v[18:19], -v[32:33]
	;; [unrolled: 1-line block ×4, first 2 shown]
	v_add_f64 v[32:33], v[8:9], v[4:5]
	v_add_f64 v[36:37], v[14:15], v[10:11]
	v_add_f64 v[20:21], v[4:5], -v[24:25]
	v_add_f64 v[22:23], v[10:11], -v[26:27]
	;; [unrolled: 1-line block ×7, first 2 shown]
	v_add_f64 v[46:47], v[24:25], v[32:33]
	v_add_f64 v[64:65], v[26:27], v[36:37]
	v_add_f64 v[36:37], v[24:25], -v[8:9]
	v_add_f64 v[24:25], v[34:35], v[28:29]
	v_add_f64 v[26:27], v[18:19], v[12:13]
	v_mul_f64 v[32:33], v[20:21], s[4:5]
	v_mul_f64 v[34:35], v[22:23], s[4:5]
	v_mul_f64 v[50:51], v[30:31], s[6:7]
	v_mul_f64 v[48:49], v[38:39], s[6:7]
	s_mov_b32 s4, 0x36b3c0b5
	s_mov_b32 s6, 0xe976ee23
	;; [unrolled: 1-line block ×4, first 2 shown]
	v_add_f64 v[0:1], v[0:1], v[46:47]
	v_add_f64 v[2:3], v[2:3], v[64:65]
	;; [unrolled: 1-line block ×4, first 2 shown]
	v_fma_f64 v[20:21], v[36:37], s[4:5], v[32:33]
	v_fma_f64 v[22:23], v[40:41], s[4:5], v[34:35]
	;; [unrolled: 1-line block ×6, first 2 shown]
	s_mov_b32 s10, 0x37c3f68c
	s_mov_b32 s11, 0xbfdc38aa
	v_fma_f64 v[26:27], v[59:60], s[10:11], v[18:19]
	v_fma_f64 v[18:19], v[61:62], s[10:11], v[24:25]
	v_add_f64 v[24:25], v[20:21], v[38:39]
	v_add_f64 v[30:31], v[22:23], v[46:47]
	v_add_f64 v[20:21], v[24:25], -v[18:19]
	v_add_f64 v[22:23], v[26:27], v[30:31]
	s_and_saveexec_b32 s1, s0
	s_cbranch_execz .LBB0_17
; %bb.16:
	v_add_f64 v[16:17], v[28:29], -v[16:17]
	v_add_f64 v[10:11], v[14:15], -v[10:11]
	;; [unrolled: 1-line block ×4, first 2 shown]
	v_mul_f64 v[8:9], v[40:41], s[4:5]
	v_mul_f64 v[12:13], v[42:43], s[6:7]
	v_mul_f64 v[14:15], v[44:45], s[6:7]
	v_mul_f64 v[28:29], v[36:37], s[4:5]
	s_mov_b32 s5, 0x3febfeb5
	s_mov_b32 s4, 0x429ad128
	;; [unrolled: 1-line block ×4, first 2 shown]
	v_mul_f64 v[36:37], v[59:60], s[10:11]
	v_mul_f64 v[40:41], v[61:62], s[10:11]
	v_fma_f64 v[42:43], v[16:17], s[4:5], -v[50:51]
	v_fma_f64 v[34:35], v[10:11], s[6:7], -v[34:35]
	;; [unrolled: 1-line block ×4, first 2 shown]
	s_mov_b32 s7, 0x3fe77f67
	s_mov_b32 s5, 0xbfebfeb5
	v_fma_f64 v[8:9], v[10:11], s[6:7], -v[8:9]
	v_fma_f64 v[10:11], v[16:17], s[4:5], -v[12:13]
	;; [unrolled: 1-line block ×4, first 2 shown]
	v_add_f64 v[12:13], v[36:37], v[42:43]
	v_add_f64 v[14:15], v[34:35], v[46:47]
	;; [unrolled: 1-line block ×8, first 2 shown]
	v_add_f64 v[6:7], v[30:31], -v[26:27]
	v_add_f64 v[4:5], v[18:19], v[24:25]
	v_lshrrev_b32_e32 v30, 1, v52
	v_add_f64 v[10:11], v[12:13], v[14:15]
	v_add_f64 v[14:15], v[14:15], -v[12:13]
	v_add_f64 v[12:13], v[28:29], v[16:17]
	v_add_f64 v[8:9], v[16:17], -v[28:29]
	v_mul_u32_u24_e32 v28, 14, v30
	v_add_f64 v[26:27], v[34:35], v[32:33]
	v_add_f64 v[18:19], v[32:33], -v[34:35]
	v_add_f64 v[24:25], v[38:39], -v[36:37]
	v_add_f64 v[16:17], v[36:37], v[38:39]
	v_or_b32_e32 v28, v28, v63
	v_lshl_add_u32 v28, v28, 4, 0
	ds_write_b128 v28, v[0:3]
	ds_write_b128 v28, v[4:7] offset:32
	ds_write_b128 v28, v[12:15] offset:64
	;; [unrolled: 1-line block ×6, first 2 shown]
.LBB0_17:
	s_or_b32 exec_lo, exec_lo, s1
	v_lshrrev_b16 v0, 1, v52
	v_lshrrev_b16 v1, 1, v54
	v_mov_b32_e32 v2, 0x4925
	s_waitcnt lgkmcnt(0)
	s_barrier
	v_and_b32_e32 v12, 0x7f, v0
	buffer_gl0_inv
	v_mul_u32_u24_sdwa v0, v1, v2 dst_sel:DWORD dst_unused:UNUSED_PAD src0_sel:WORD_0 src1_sel:DWORD
	v_mov_b32_e32 v2, 5
	v_lshl_add_u32 v75, v54, 4, 0
	v_mul_lo_u16 v1, 0x93, v12
	s_mov_b32 s0, 0xe8584caa
	v_lshrrev_b32_e32 v50, 17, v0
	s_mov_b32 s1, 0xbfebb67a
	s_mov_b32 s5, 0x3febb67a
	v_lshrrev_b16 v51, 10, v1
	s_mov_b32 s4, s0
	v_mul_lo_u16 v0, v50, 14
	v_mul_lo_u16 v1, v51, 14
	v_sub_nc_u16 v59, v54, v0
	v_sub_nc_u16 v60, v52, v1
	v_lshlrev_b32_sdwa v4, v2, v59 dst_sel:DWORD dst_unused:UNUSED_PAD src0_sel:DWORD src1_sel:WORD_0
	v_lshlrev_b32_sdwa v13, v2, v60 dst_sel:DWORD dst_unused:UNUSED_PAD src0_sel:DWORD src1_sel:BYTE_0
	s_clause 0x3
	global_load_dwordx4 v[0:3], v4, s[8:9] offset:192
	global_load_dwordx4 v[4:7], v4, s[8:9] offset:208
	;; [unrolled: 1-line block ×4, first 2 shown]
	v_lshlrev_b32_e32 v13, 4, v58
	v_sub_nc_u32_e32 v18, v55, v13
	ds_read_b128 v[24:27], v74 offset:11088
	ds_read_b128 v[28:31], v74 offset:18480
	ds_read_b128 v[32:35], v18
	ds_read_b128 v[36:39], v74 offset:14784
	ds_read_b128 v[40:43], v75
	s_waitcnt vmcnt(3) lgkmcnt(4)
	v_mul_f64 v[18:19], v[26:27], v[2:3]
	s_waitcnt vmcnt(2) lgkmcnt(3)
	v_mul_f64 v[44:45], v[30:31], v[6:7]
	;; [unrolled: 2-line block ×4, first 2 shown]
	v_mul_f64 v[10:11], v[32:33], v[10:11]
	v_mul_f64 v[16:17], v[36:37], v[16:17]
	v_mul_f64 v[2:3], v[24:25], v[2:3]
	v_mul_f64 v[6:7], v[28:29], v[6:7]
	v_fma_f64 v[18:19], v[24:25], v[0:1], v[18:19]
	v_fma_f64 v[24:25], v[28:29], v[4:5], v[44:45]
	;; [unrolled: 1-line block ×4, first 2 shown]
	v_fma_f64 v[8:9], v[34:35], v[8:9], -v[10:11]
	v_fma_f64 v[10:11], v[38:39], v[14:15], -v[16:17]
	;; [unrolled: 1-line block ×3, first 2 shown]
	ds_read_b128 v[0:3], v74
	v_fma_f64 v[4:5], v[30:31], v[4:5], -v[6:7]
	s_waitcnt lgkmcnt(0)
	s_barrier
	buffer_gl0_inv
	v_add_f64 v[34:35], v[40:41], v[18:19]
	v_add_f64 v[6:7], v[18:19], v[24:25]
	v_add_f64 v[18:19], v[18:19], -v[24:25]
	v_add_f64 v[16:17], v[28:29], v[32:33]
	v_add_f64 v[26:27], v[8:9], v[10:11]
	;; [unrolled: 1-line block ×3, first 2 shown]
	v_add_f64 v[44:45], v[8:9], -v[10:11]
	v_add_f64 v[30:31], v[14:15], v[4:5]
	v_add_f64 v[36:37], v[14:15], -v[4:5]
	v_add_f64 v[14:15], v[42:43], v[14:15]
	v_add_f64 v[8:9], v[2:3], v[8:9]
	v_fma_f64 v[40:41], v[6:7], -0.5, v[40:41]
	v_fma_f64 v[6:7], v[16:17], -0.5, v[0:1]
	v_add_f64 v[16:17], v[28:29], -v[32:33]
	v_fma_f64 v[46:47], v[26:27], -0.5, v[2:3]
	v_add_f64 v[28:29], v[34:35], v[24:25]
	v_add_f64 v[0:1], v[38:39], v[32:33]
	v_fma_f64 v[42:43], v[30:31], -0.5, v[42:43]
	v_add_f64 v[30:31], v[14:15], v[4:5]
	v_add_f64 v[2:3], v[8:9], v[10:11]
	v_mov_b32_e32 v8, 0x2a0
	v_mov_b32_e32 v9, 4
	v_mul_u32_u24_e32 v10, 0x2a0, v50
	v_mul_u32_u24_sdwa v8, v51, v8 dst_sel:DWORD dst_unused:UNUSED_PAD src0_sel:WORD_0 src1_sel:DWORD
	v_lshlrev_b32_sdwa v11, v9, v60 dst_sel:DWORD dst_unused:UNUSED_PAD src0_sel:DWORD src1_sel:BYTE_0
	v_lshlrev_b32_sdwa v9, v9, v59 dst_sel:DWORD dst_unused:UNUSED_PAD src0_sel:DWORD src1_sel:WORD_0
                                        ; implicit-def: $vgpr50_vgpr51
	v_add3_u32 v8, 0, v8, v11
	v_fma_f64 v[32:33], v[36:37], s[0:1], v[40:41]
	v_fma_f64 v[24:25], v[44:45], s[0:1], v[6:7]
	;; [unrolled: 1-line block ×8, first 2 shown]
	v_cmp_gt_u32_e64 s0, 0x7e, v52
	v_add3_u32 v9, 0, v10, v9
                                        ; implicit-def: $vgpr10_vgpr11
                                        ; implicit-def: $vgpr46_vgpr47
                                        ; implicit-def: $vgpr42_vgpr43
	ds_write_b128 v8, v[0:3]
	ds_write_b128 v8, v[24:27] offset:224
	ds_write_b128 v8, v[4:7] offset:448
	ds_write_b128 v9, v[28:31]
	ds_write_b128 v9, v[32:35] offset:224
	ds_write_b128 v9, v[36:39] offset:448
	s_waitcnt lgkmcnt(0)
	s_barrier
	buffer_gl0_inv
	s_and_saveexec_b32 s1, s0
	s_cbranch_execz .LBB0_19
; %bb.18:
	ds_read_b128 v[0:3], v74
	ds_read_b128 v[24:27], v74 offset:2016
	ds_read_b128 v[4:7], v74 offset:4032
	;; [unrolled: 1-line block ×10, first 2 shown]
.LBB0_19:
	s_or_b32 exec_lo, exec_lo, s1
	v_lshlrev_b32_e32 v59, 1, v54
	v_sub_nc_u32_e32 v76, 0, v13
	s_waitcnt lgkmcnt(0)
	s_barrier
	buffer_gl0_inv
	s_and_saveexec_b32 s30, s0
	s_cbranch_execz .LBB0_21
; %bb.20:
	v_mul_lo_u16 v12, v12, 49
	v_mov_b32_e32 v13, 10
	s_mov_b32 s18, 0xbb3a28a1
	s_mov_b32 s20, 0xf8bb580b
	;; [unrolled: 1-line block ×3, first 2 shown]
	v_lshrrev_b16 v77, 10, v12
	s_mov_b32 s14, 0x43842ef
	s_mov_b32 s19, 0xbfe82f19
	;; [unrolled: 1-line block ×4, first 2 shown]
	v_mul_lo_u16 v12, v77, 42
	s_mov_b32 s25, 0xbfe14ced
	s_mov_b32 s24, s20
	s_mov_b32 s15, 0xbfefac9e
	s_mov_b32 s13, 0x3fed1bb4
	v_sub_nc_u16 v78, v52, v12
	s_mov_b32 s12, 0x8eee2c13
	s_mov_b32 s29, 0x3fd207e7
	;; [unrolled: 1-line block ×4, first 2 shown]
	v_mul_u32_u24_sdwa v12, v78, v13 dst_sel:DWORD dst_unused:UNUSED_PAD src0_sel:BYTE_0 src1_sel:DWORD
	s_mov_b32 s10, 0x8764f0ba
	s_mov_b32 s16, 0x9bcd5057
	;; [unrolled: 1-line block ×4, first 2 shown]
	v_lshlrev_b32_e32 v12, 4, v12
	s_mov_b32 s11, 0x3feaeb8c
	s_mov_b32 s17, 0xbfeeb42a
	;; [unrolled: 1-line block ×4, first 2 shown]
	s_clause 0x9
	global_load_dwordx4 v[62:65], v12, s[8:9] offset:704
	global_load_dwordx4 v[79:82], v12, s[8:9] offset:720
	global_load_dwordx4 v[83:86], v12, s[8:9] offset:688
	global_load_dwordx4 v[87:90], v12, s[8:9] offset:736
	global_load_dwordx4 v[91:94], v12, s[8:9] offset:640
	global_load_dwordx4 v[95:98], v12, s[8:9] offset:784
	global_load_dwordx4 v[99:102], v12, s[8:9] offset:672
	global_load_dwordx4 v[103:106], v12, s[8:9] offset:752
	global_load_dwordx4 v[16:19], v12, s[8:9] offset:656
	global_load_dwordx4 v[12:15], v12, s[8:9] offset:768
	s_mov_b32 s5, 0xbfc2375f
	s_mov_b32 s0, 0xd9c712b6
	;; [unrolled: 1-line block ×3, first 2 shown]
	v_mov_b32_e32 v247, 0x1ce0
	v_mov_b32_e32 v248, 4
	s_waitcnt vmcnt(9)
	v_mul_f64 v[60:61], v[38:39], v[64:65]
	v_mul_f64 v[64:65], v[36:37], v[64:65]
	s_waitcnt vmcnt(7)
	v_mul_f64 v[109:110], v[34:35], v[85:86]
	s_waitcnt vmcnt(6)
	;; [unrolled: 2-line block ×4, first 2 shown]
	v_mul_f64 v[115:116], v[50:51], v[97:98]
	v_mul_f64 v[89:90], v[40:41], v[89:90]
	;; [unrolled: 1-line block ×7, first 2 shown]
	s_waitcnt vmcnt(2)
	v_mul_f64 v[119:120], v[46:47], v[105:106]
	v_mul_f64 v[105:106], v[44:45], v[105:106]
	s_waitcnt vmcnt(1)
	v_mul_f64 v[66:67], v[6:7], v[18:19]
	v_mul_f64 v[70:71], v[4:5], v[18:19]
	s_waitcnt vmcnt(0)
	v_mul_f64 v[68:69], v[10:11], v[14:15]
	v_mul_f64 v[72:73], v[8:9], v[14:15]
	v_mul_f64 v[117:118], v[30:31], v[101:102]
	v_mul_f64 v[101:102], v[28:29], v[101:102]
	v_fma_f64 v[60:61], v[36:37], v[62:63], v[60:61]
	v_fma_f64 v[38:39], v[38:39], v[62:63], -v[64:65]
	v_fma_f64 v[62:63], v[32:33], v[83:84], v[109:110]
	v_fma_f64 v[32:33], v[40:41], v[87:88], v[111:112]
	;; [unrolled: 1-line block ×4, first 2 shown]
	v_fma_f64 v[24:25], v[42:43], v[87:88], -v[89:90]
	v_fma_f64 v[42:43], v[26:27], v[91:92], -v[93:94]
	;; [unrolled: 1-line block ×3, first 2 shown]
	v_fma_f64 v[36:37], v[20:21], v[79:80], v[107:108]
	v_fma_f64 v[64:65], v[34:35], v[83:84], -v[85:86]
	v_fma_f64 v[34:35], v[22:23], v[79:80], -v[81:82]
	v_fma_f64 v[20:21], v[44:45], v[103:104], v[119:120]
	v_fma_f64 v[22:23], v[46:47], v[103:104], -v[105:106]
	v_fma_f64 v[4:5], v[4:5], v[16:17], v[66:67]
	v_fma_f64 v[6:7], v[6:7], v[16:17], -v[70:71]
	v_fma_f64 v[8:9], v[8:9], v[12:13], v[68:69]
	v_fma_f64 v[10:11], v[10:11], v[12:13], -v[72:73]
	v_fma_f64 v[28:29], v[28:29], v[99:100], v[117:118]
	v_fma_f64 v[26:27], v[30:31], v[99:100], -v[101:102]
	v_add_f64 v[12:13], v[62:63], -v[32:33]
	v_add_f64 v[83:84], v[62:63], v[32:33]
	v_add_f64 v[16:17], v[40:41], -v[14:15]
	v_add_f64 v[70:71], v[40:41], v[14:15]
	v_add_f64 v[40:41], v[0:1], v[40:41]
	v_add_f64 v[46:47], v[42:43], -v[18:19]
	v_add_f64 v[68:69], v[42:43], v[18:19]
	v_add_f64 v[42:43], v[2:3], v[42:43]
	v_add_f64 v[30:31], v[64:65], -v[24:25]
	v_add_f64 v[44:45], v[60:61], -v[36:37]
	;; [unrolled: 1-line block ×3, first 2 shown]
	v_add_f64 v[95:96], v[60:61], v[36:37]
	v_add_f64 v[79:80], v[64:65], v[24:25]
	v_add_f64 v[87:88], v[4:5], -v[8:9]
	v_add_f64 v[89:90], v[6:7], v[10:11]
	v_add_f64 v[91:92], v[6:7], -v[10:11]
	;; [unrolled: 2-line block ×3, first 2 shown]
	v_add_f64 v[66:67], v[26:27], -v[22:23]
	v_add_f64 v[72:73], v[26:27], v[22:23]
	v_add_f64 v[81:82], v[28:29], v[20:21]
	;; [unrolled: 1-line block ×3, first 2 shown]
	v_mul_f64 v[97:98], v[12:13], s[12:13]
	v_mul_f64 v[129:130], v[12:13], s[22:23]
	;; [unrolled: 1-line block ×4, first 2 shown]
	v_add_f64 v[4:5], v[40:41], v[4:5]
	v_mul_f64 v[109:110], v[46:47], s[22:23]
	v_mul_f64 v[117:118], v[46:47], s[18:19]
	v_add_f64 v[6:7], v[42:43], v[6:7]
	v_mul_f64 v[123:124], v[46:47], s[24:25]
	v_mul_f64 v[103:104], v[16:17], s[18:19]
	v_mul_f64 v[107:108], v[16:17], s[14:15]
	v_mul_f64 v[121:122], v[46:47], s[14:15]
	v_mul_f64 v[101:102], v[30:31], s[12:13]
	v_mul_f64 v[105:106], v[44:45], s[12:13]
	v_mul_f64 v[111:112], v[48:49], s[12:13]
	v_mul_f64 v[163:164], v[91:92], s[28:29]
	v_mul_f64 v[165:166], v[91:92], s[18:19]
	v_mul_f64 v[113:114], v[50:51], s[12:13]
	v_mul_f64 v[119:120], v[66:67], s[12:13]
	s_mov_b32 s13, 0xbfed1bb4
	v_mul_f64 v[167:168], v[48:49], s[14:15]
	v_mul_f64 v[169:170], v[48:49], s[18:19]
	;; [unrolled: 1-line block ×6, first 2 shown]
	v_add_f64 v[4:5], v[4:5], v[28:29]
	v_mul_f64 v[125:126], v[50:51], s[18:19]
	v_mul_f64 v[127:128], v[50:51], s[24:25]
	v_add_f64 v[6:7], v[6:7], v[26:27]
	v_mul_f64 v[131:132], v[12:13], s[24:25]
	v_mul_f64 v[133:134], v[12:13], s[26:27]
	v_mul_f64 v[12:13], v[12:13], s[18:19]
	v_mul_f64 v[135:136], v[50:51], s[28:29]
	v_mul_f64 v[50:51], v[50:51], s[14:15]
	v_mul_f64 v[40:41], v[66:67], s[18:19]
	v_mul_f64 v[42:43], v[66:67], s[24:25]
	v_mul_f64 v[137:138], v[66:67], s[28:29]
	v_mul_f64 v[66:67], v[66:67], s[14:15]
	v_mul_f64 v[139:140], v[30:31], s[22:23]
	v_mul_f64 v[141:142], v[30:31], s[24:25]
	v_mul_f64 v[143:144], v[30:31], s[26:27]
	v_mul_f64 v[30:31], v[30:31], s[18:19]
	v_mul_f64 v[145:146], v[44:45], s[14:15]
	v_mul_f64 v[147:148], v[44:45], s[18:19]
	v_mul_f64 v[149:150], v[44:45], s[20:21]
	v_mul_f64 v[44:45], v[44:45], s[22:23]
	v_mul_f64 v[151:152], v[87:88], s[20:21]
	v_add_f64 v[4:5], v[4:5], v[62:63]
	v_mul_f64 v[153:154], v[87:88], s[26:27]
	v_mul_f64 v[155:156], v[87:88], s[28:29]
	v_add_f64 v[6:7], v[6:7], v[64:65]
	v_mul_f64 v[157:158], v[87:88], s[18:19]
	v_mul_f64 v[159:160], v[91:92], s[20:21]
	;; [unrolled: 1-line block ×5, first 2 shown]
	v_fma_f64 v[173:174], v[68:69], s[16:17], v[99:100]
	v_fma_f64 v[99:100], v[68:69], s[16:17], -v[99:100]
	v_fma_f64 v[179:180], v[70:71], s[16:17], -v[109:110]
	v_fma_f64 v[109:110], v[70:71], s[16:17], v[109:110]
	v_fma_f64 v[181:182], v[68:69], s[10:11], v[115:116]
	v_fma_f64 v[183:184], v[70:71], s[6:7], -v[117:118]
	v_fma_f64 v[115:116], v[68:69], s[10:11], -v[115:116]
	v_fma_f64 v[117:118], v[70:71], s[6:7], v[117:118]
	v_fma_f64 v[187:188], v[70:71], s[10:11], -v[123:124]
	v_fma_f64 v[123:124], v[70:71], s[10:11], v[123:124]
	v_fma_f64 v[175:176], v[68:69], s[6:7], v[103:104]
	v_fma_f64 v[103:104], v[68:69], s[6:7], -v[103:104]
	v_fma_f64 v[177:178], v[68:69], s[4:5], v[107:108]
	v_fma_f64 v[107:108], v[68:69], s[4:5], -v[107:108]
	v_fma_f64 v[185:186], v[70:71], s[4:5], -v[121:122]
	v_fma_f64 v[121:122], v[70:71], s[4:5], v[121:122]
	v_fma_f64 v[237:238], v[93:94], s[16:17], -v[163:164]
	v_fma_f64 v[62:63], v[93:94], s[16:17], v[163:164]
	;; [unrolled: 2-line block ×7, first 2 shown]
	v_fma_f64 v[245:246], v[95:96], s[16:17], v[48:49]
	v_fma_f64 v[48:49], v[95:96], s[16:17], -v[48:49]
	v_fma_f64 v[95:96], v[68:69], s[0:1], v[16:17]
	v_fma_f64 v[16:17], v[68:69], s[0:1], -v[16:17]
	v_fma_f64 v[68:69], v[70:71], s[0:1], -v[46:47]
	v_fma_f64 v[46:47], v[70:71], s[0:1], v[46:47]
	v_add_f64 v[6:7], v[6:7], v[38:39]
	v_add_f64 v[4:5], v[4:5], v[60:61]
	v_fma_f64 v[189:190], v[79:80], s[0:1], v[97:98]
	v_fma_f64 v[97:98], v[79:80], s[0:1], -v[97:98]
	v_fma_f64 v[191:192], v[79:80], s[16:17], v[129:130]
	v_fma_f64 v[129:130], v[79:80], s[16:17], -v[129:130]
	;; [unrolled: 2-line block ×10, first 2 shown]
	v_fma_f64 v[26:27], v[81:82], s[6:7], -v[40:41]
	v_fma_f64 v[28:29], v[81:82], s[6:7], v[40:41]
	v_fma_f64 v[40:41], v[81:82], s[10:11], -v[42:43]
	v_fma_f64 v[42:43], v[81:82], s[10:11], v[42:43]
	;; [unrolled: 2-line block ×10, first 2 shown]
	v_fma_f64 v[83:84], v[85:86], s[4:5], v[145:146]
	v_fma_f64 v[145:146], v[85:86], s[4:5], -v[145:146]
	v_fma_f64 v[219:220], v[85:86], s[0:1], v[105:106]
	v_fma_f64 v[105:106], v[85:86], s[0:1], -v[105:106]
	;; [unrolled: 2-line block ×9, first 2 shown]
	v_fma_f64 v[233:234], v[93:94], s[10:11], -v[159:160]
	v_fma_f64 v[159:160], v[93:94], s[10:11], v[159:160]
	v_fma_f64 v[235:236], v[93:94], s[4:5], -v[161:162]
	v_fma_f64 v[161:162], v[93:94], s[4:5], v[161:162]
	v_fma_f64 v[70:71], v[89:90], s[0:1], v[87:88]
	v_fma_f64 v[87:88], v[89:90], s[0:1], -v[87:88]
	v_fma_f64 v[89:90], v[93:94], s[0:1], v[91:92]
	v_fma_f64 v[38:39], v[93:94], s[0:1], -v[91:92]
	v_add_f64 v[60:61], v[2:3], v[173:174]
	v_add_f64 v[91:92], v[0:1], v[179:180]
	;; [unrolled: 1-line block ×110, first 2 shown]
	v_mul_u32_u24_sdwa v12, v77, v247 dst_sel:DWORD dst_unused:UNUSED_PAD src0_sel:WORD_0 src1_sel:DWORD
	v_lshlrev_b32_sdwa v13, v248, v78 dst_sel:DWORD dst_unused:UNUSED_PAD src0_sel:DWORD src1_sel:BYTE_0
	v_add3_u32 v12, 0, v12, v13
	ds_write_b128 v12, v[24:27] offset:672
	ds_write_b128 v12, v[32:35] offset:2016
	;; [unrolled: 1-line block ×9, first 2 shown]
	ds_write_b128 v12, v[44:47]
	ds_write_b128 v12, v[14:17] offset:6720
.LBB0_21:
	s_or_b32 exec_lo, exec_lo, s30
	v_lshlrev_b32_e32 v1, 1, v52
	v_mov_b32_e32 v2, 0
	s_waitcnt lgkmcnt(0)
	s_barrier
	buffer_gl0_inv
	s_mov_b32 s5, 0x3febb67a
	v_lshlrev_b64 v[0:1], 4, v[1:2]
	v_mov_b32_e32 v60, v2
	v_add_co_u32 v3, s0, s8, v0
	v_add_co_ci_u32_e64 v4, s0, s9, v1, s0
	v_lshlrev_b64 v[0:1], 4, v[59:60]
	v_add_co_u32 v7, s0, 0x1cc0, v3
	v_add_co_ci_u32_e64 v8, s0, 0, v4, s0
	v_add_co_u32 v5, s0, s8, v0
	v_add_co_ci_u32_e64 v6, s0, s9, v1, s0
	;; [unrolled: 2-line block ×5, first 2 shown]
	s_clause 0x3
	global_load_dwordx4 v[3:6], v[0:1], off offset:1216
	global_load_dwordx4 v[7:10], v[7:8], off offset:16
	;; [unrolled: 1-line block ×4, first 2 shown]
	v_add_nc_u32_e32 v12, v55, v76
	ds_read_b128 v[21:24], v12
	ds_read_b128 v[25:28], v74 offset:14784
	ds_read_b128 v[29:32], v74 offset:11088
	;; [unrolled: 1-line block ×3, first 2 shown]
	ds_read_b128 v[37:40], v75
	s_mov_b32 s0, 0xe8584caa
	s_mov_b32 s1, 0xbfebb67a
	;; [unrolled: 1-line block ×3, first 2 shown]
	s_waitcnt vmcnt(3) lgkmcnt(4)
	v_mul_f64 v[0:1], v[23:24], v[5:6]
	s_waitcnt vmcnt(2) lgkmcnt(3)
	v_mul_f64 v[41:42], v[27:28], v[9:10]
	v_mul_f64 v[5:6], v[21:22], v[5:6]
	;; [unrolled: 1-line block ×3, first 2 shown]
	s_waitcnt vmcnt(1) lgkmcnt(2)
	v_mul_f64 v[43:44], v[31:32], v[15:16]
	s_waitcnt vmcnt(0) lgkmcnt(1)
	v_mul_f64 v[45:46], v[35:36], v[19:20]
	v_mul_f64 v[15:16], v[29:30], v[15:16]
	;; [unrolled: 1-line block ×3, first 2 shown]
	v_fma_f64 v[0:1], v[21:22], v[3:4], v[0:1]
	v_fma_f64 v[21:22], v[25:26], v[7:8], v[41:42]
	v_fma_f64 v[23:24], v[23:24], v[3:4], -v[5:6]
	v_fma_f64 v[7:8], v[27:28], v[7:8], -v[9:10]
	v_fma_f64 v[9:10], v[29:30], v[13:14], v[43:44]
	v_fma_f64 v[25:26], v[33:34], v[17:18], v[45:46]
	v_fma_f64 v[13:14], v[31:32], v[13:14], -v[15:16]
	v_fma_f64 v[15:16], v[35:36], v[17:18], -v[19:20]
	ds_read_b128 v[3:6], v74
	s_waitcnt lgkmcnt(0)
	s_barrier
	buffer_gl0_inv
	v_add_f64 v[17:18], v[0:1], v[21:22]
	v_add_f64 v[19:20], v[23:24], v[7:8]
	v_add_f64 v[33:34], v[23:24], -v[7:8]
	v_add_f64 v[27:28], v[9:10], v[25:26]
	v_add_f64 v[31:32], v[3:4], v[0:1]
	;; [unrolled: 1-line block ×5, first 2 shown]
	v_add_f64 v[0:1], v[0:1], -v[21:22]
	v_add_f64 v[35:36], v[37:38], v[9:10]
	v_add_f64 v[43:44], v[13:14], -v[15:16]
	v_fma_f64 v[17:18], v[17:18], -0.5, v[3:4]
	v_fma_f64 v[19:20], v[19:20], -0.5, v[5:6]
	;; [unrolled: 1-line block ×3, first 2 shown]
	v_add_f64 v[37:38], v[9:10], -v[25:26]
	v_fma_f64 v[29:30], v[29:30], -0.5, v[39:40]
	v_add_f64 v[3:4], v[31:32], v[21:22]
	v_add_f64 v[5:6], v[23:24], v[7:8]
	;; [unrolled: 1-line block ×4, first 2 shown]
	v_fma_f64 v[13:14], v[33:34], s[0:1], v[17:18]
	v_fma_f64 v[17:18], v[33:34], s[4:5], v[17:18]
	;; [unrolled: 1-line block ×8, first 2 shown]
	s_add_u32 s1, s8, 0x5680
	s_addc_u32 s4, s9, 0
	s_mov_b32 s5, exec_lo
                                        ; implicit-def: $vgpr0_vgpr1
	ds_write_b128 v74, v[3:6]
	ds_write_b128 v74, v[13:16] offset:7392
	ds_write_b128 v74, v[17:20] offset:14784
	ds_write_b128 v75, v[7:10]
	ds_write_b128 v75, v[21:24] offset:7392
	ds_write_b128 v75, v[25:28] offset:14784
	s_waitcnt lgkmcnt(0)
	s_barrier
	buffer_gl0_inv
	ds_read_b128 v[4:7], v74
	v_sub_nc_u32_e32 v13, 0, v53
                                        ; implicit-def: $vgpr8_vgpr9
                                        ; implicit-def: $vgpr10_vgpr11
	v_cmpx_ne_u32_e32 0, v52
	s_xor_b32 s5, exec_lo, s5
	s_cbranch_execz .LBB0_23
; %bb.22:
	v_mov_b32_e32 v53, v2
	v_lshlrev_b64 v[0:1], 4, v[52:53]
	v_add_co_u32 v0, s0, s1, v0
	v_add_co_ci_u32_e64 v1, s0, s4, v1, s0
	global_load_dwordx4 v[14:17], v[0:1], off
	ds_read_b128 v[0:3], v13 offset:22176
	s_waitcnt lgkmcnt(0)
	v_add_f64 v[8:9], v[4:5], -v[0:1]
	v_add_f64 v[10:11], v[6:7], v[2:3]
	v_add_f64 v[2:3], v[6:7], -v[2:3]
	v_add_f64 v[0:1], v[4:5], v[0:1]
	v_mul_f64 v[6:7], v[8:9], 0.5
	v_mul_f64 v[4:5], v[10:11], 0.5
	v_mul_f64 v[2:3], v[2:3], 0.5
	s_waitcnt vmcnt(0)
	v_mul_f64 v[8:9], v[6:7], v[16:17]
	v_fma_f64 v[10:11], v[4:5], v[16:17], v[2:3]
	v_fma_f64 v[2:3], v[4:5], v[16:17], -v[2:3]
	v_fma_f64 v[18:19], v[0:1], 0.5, v[8:9]
	v_fma_f64 v[0:1], v[0:1], 0.5, -v[8:9]
	v_fma_f64 v[10:11], -v[14:15], v[6:7], v[10:11]
	v_fma_f64 v[2:3], -v[14:15], v[6:7], v[2:3]
	v_fma_f64 v[8:9], v[4:5], v[14:15], v[18:19]
	v_fma_f64 v[0:1], -v[4:5], v[14:15], v[0:1]
                                        ; implicit-def: $vgpr4_vgpr5
.LBB0_23:
	s_andn2_saveexec_b32 s0, s5
	s_cbranch_execz .LBB0_25
; %bb.24:
	v_mov_b32_e32 v16, 0
	s_waitcnt lgkmcnt(0)
	v_add_f64 v[8:9], v[4:5], v[6:7]
	v_add_f64 v[0:1], v[4:5], -v[6:7]
	v_mov_b32_e32 v10, 0
	v_mov_b32_e32 v11, 0
	ds_read_b64 v[14:15], v16 offset:11096
	v_mov_b32_e32 v2, v10
	v_mov_b32_e32 v3, v11
	s_waitcnt lgkmcnt(0)
	v_xor_b32_e32 v15, 0x80000000, v15
	ds_write_b64 v16, v[14:15] offset:11096
.LBB0_25:
	s_or_b32 exec_lo, exec_lo, s0
	v_mov_b32_e32 v55, 0
	s_waitcnt lgkmcnt(0)
	v_lshlrev_b64 v[4:5], 4, v[54:55]
	v_mov_b32_e32 v59, v55
	v_lshlrev_b64 v[14:15], 4, v[58:59]
	v_add_co_u32 v4, s0, s1, v4
	v_add_co_ci_u32_e64 v5, s0, s4, v5, s0
	v_add_co_u32 v14, s0, s1, v14
	global_load_dwordx4 v[4:7], v[4:5], off
	v_add_co_ci_u32_e64 v15, s0, s4, v15, s0
	global_load_dwordx4 v[14:17], v[14:15], off
	ds_write2_b64 v74, v[8:9], v[10:11] offset1:1
	ds_write_b128 v13, v[0:3] offset:22176
	ds_read_b128 v[0:3], v75
	ds_read_b128 v[8:11], v13 offset:18480
	s_waitcnt lgkmcnt(0)
	v_add_f64 v[18:19], v[0:1], -v[8:9]
	v_add_f64 v[20:21], v[2:3], v[10:11]
	v_add_f64 v[2:3], v[2:3], -v[10:11]
	v_add_f64 v[0:1], v[0:1], v[8:9]
	v_mul_f64 v[10:11], v[18:19], 0.5
	v_mul_f64 v[18:19], v[20:21], 0.5
	;; [unrolled: 1-line block ×3, first 2 shown]
	s_waitcnt vmcnt(1)
	v_mul_f64 v[8:9], v[10:11], v[6:7]
	v_fma_f64 v[20:21], v[18:19], v[6:7], v[2:3]
	v_fma_f64 v[2:3], v[18:19], v[6:7], -v[2:3]
	v_fma_f64 v[6:7], v[0:1], 0.5, v[8:9]
	v_fma_f64 v[0:1], v[0:1], 0.5, -v[8:9]
	v_fma_f64 v[8:9], -v[4:5], v[10:11], v[20:21]
	v_fma_f64 v[2:3], -v[4:5], v[10:11], v[2:3]
	v_fma_f64 v[6:7], v[18:19], v[4:5], v[6:7]
	v_fma_f64 v[0:1], -v[18:19], v[4:5], v[0:1]
	ds_write2_b64 v75, v[6:7], v[8:9] offset1:1
	ds_write_b128 v13, v[0:3] offset:18480
	ds_read_b128 v[0:3], v12
	ds_read_b128 v[4:7], v13 offset:14784
	s_waitcnt lgkmcnt(0)
	v_add_f64 v[8:9], v[0:1], -v[4:5]
	v_add_f64 v[10:11], v[2:3], v[6:7]
	v_add_f64 v[2:3], v[2:3], -v[6:7]
	v_add_f64 v[0:1], v[0:1], v[4:5]
	v_mul_f64 v[6:7], v[8:9], 0.5
	v_mul_f64 v[8:9], v[10:11], 0.5
	;; [unrolled: 1-line block ×3, first 2 shown]
	s_waitcnt vmcnt(0)
	v_mul_f64 v[4:5], v[6:7], v[16:17]
	v_fma_f64 v[10:11], v[8:9], v[16:17], v[2:3]
	v_fma_f64 v[2:3], v[8:9], v[16:17], -v[2:3]
	v_fma_f64 v[16:17], v[0:1], 0.5, v[4:5]
	v_fma_f64 v[0:1], v[0:1], 0.5, -v[4:5]
	v_fma_f64 v[4:5], -v[14:15], v[6:7], v[10:11]
	v_fma_f64 v[2:3], -v[14:15], v[6:7], v[2:3]
	v_fma_f64 v[6:7], v[8:9], v[14:15], v[16:17]
	v_fma_f64 v[0:1], -v[8:9], v[14:15], v[0:1]
	ds_write_b64 v12, v[4:5] offset:8
	ds_write_b64 v13, v[2:3] offset:14792
	ds_write_b64 v12, v[6:7]
	ds_write_b64 v13, v[0:1] offset:14784
	s_waitcnt lgkmcnt(0)
	s_barrier
	buffer_gl0_inv
	s_and_saveexec_b32 s0, vcc_lo
	s_cbranch_execz .LBB0_28
; %bb.26:
	v_mov_b32_e32 v53, v55
	ds_read_b128 v[2:5], v74
	ds_read_b128 v[6:9], v74 offset:3696
	v_add_co_u32 v0, vcc_lo, s2, v56
	v_add_co_ci_u32_e32 v1, vcc_lo, s3, v57, vcc_lo
	v_lshlrev_b64 v[10:11], 4, v[52:53]
	v_add_co_u32 v26, vcc_lo, v0, v10
	v_add_co_ci_u32_e32 v27, vcc_lo, v1, v11, vcc_lo
	ds_read_b128 v[10:13], v74 offset:7392
	ds_read_b128 v[14:17], v74 offset:11088
	;; [unrolled: 1-line block ×4, first 2 shown]
	v_add_co_u32 v28, vcc_lo, 0x800, v26
	v_add_co_ci_u32_e32 v29, vcc_lo, 0, v27, vcc_lo
	s_waitcnt lgkmcnt(5)
	global_store_dwordx4 v[26:27], v[2:5], off
	s_waitcnt lgkmcnt(4)
	global_store_dwordx4 v[28:29], v[6:9], off offset:1648
	v_add_co_u32 v2, vcc_lo, 0x1800, v26
	v_add_co_ci_u32_e32 v3, vcc_lo, 0, v27, vcc_lo
	v_add_co_u32 v4, vcc_lo, 0x2800, v26
	v_add_co_ci_u32_e32 v5, vcc_lo, 0, v27, vcc_lo
	;; [unrolled: 2-line block ×4, first 2 shown]
	v_cmp_eq_u32_e32 vcc_lo, 0xe6, v52
	s_waitcnt lgkmcnt(3)
	global_store_dwordx4 v[2:3], v[10:13], off offset:1248
	s_waitcnt lgkmcnt(2)
	global_store_dwordx4 v[4:5], v[14:17], off offset:848
	;; [unrolled: 2-line block ×4, first 2 shown]
	s_and_b32 exec_lo, exec_lo, vcc_lo
	s_cbranch_execz .LBB0_28
; %bb.27:
	v_mov_b32_e32 v2, 0
	v_add_co_u32 v0, vcc_lo, 0x5000, v0
	v_add_co_ci_u32_e32 v1, vcc_lo, 0, v1, vcc_lo
	ds_read_b128 v[2:5], v2 offset:22176
	s_waitcnt lgkmcnt(0)
	global_store_dwordx4 v[0:1], v[2:5], off offset:1696
.LBB0_28:
	s_endpgm
	.section	.rodata,"a",@progbits
	.p2align	6, 0x0
	.amdhsa_kernel fft_rtc_back_len1386_factors_2_7_3_11_3_wgs_231_tpt_231_halfLds_dp_ip_CI_unitstride_sbrr_R2C_dirReg
		.amdhsa_group_segment_fixed_size 0
		.amdhsa_private_segment_fixed_size 0
		.amdhsa_kernarg_size 88
		.amdhsa_user_sgpr_count 6
		.amdhsa_user_sgpr_private_segment_buffer 1
		.amdhsa_user_sgpr_dispatch_ptr 0
		.amdhsa_user_sgpr_queue_ptr 0
		.amdhsa_user_sgpr_kernarg_segment_ptr 1
		.amdhsa_user_sgpr_dispatch_id 0
		.amdhsa_user_sgpr_flat_scratch_init 0
		.amdhsa_user_sgpr_private_segment_size 0
		.amdhsa_wavefront_size32 1
		.amdhsa_uses_dynamic_stack 0
		.amdhsa_system_sgpr_private_segment_wavefront_offset 0
		.amdhsa_system_sgpr_workgroup_id_x 1
		.amdhsa_system_sgpr_workgroup_id_y 0
		.amdhsa_system_sgpr_workgroup_id_z 0
		.amdhsa_system_sgpr_workgroup_info 0
		.amdhsa_system_vgpr_workitem_id 0
		.amdhsa_next_free_vgpr 249
		.amdhsa_next_free_sgpr 31
		.amdhsa_reserve_vcc 1
		.amdhsa_reserve_flat_scratch 0
		.amdhsa_float_round_mode_32 0
		.amdhsa_float_round_mode_16_64 0
		.amdhsa_float_denorm_mode_32 3
		.amdhsa_float_denorm_mode_16_64 3
		.amdhsa_dx10_clamp 1
		.amdhsa_ieee_mode 1
		.amdhsa_fp16_overflow 0
		.amdhsa_workgroup_processor_mode 1
		.amdhsa_memory_ordered 1
		.amdhsa_forward_progress 0
		.amdhsa_shared_vgpr_count 0
		.amdhsa_exception_fp_ieee_invalid_op 0
		.amdhsa_exception_fp_denorm_src 0
		.amdhsa_exception_fp_ieee_div_zero 0
		.amdhsa_exception_fp_ieee_overflow 0
		.amdhsa_exception_fp_ieee_underflow 0
		.amdhsa_exception_fp_ieee_inexact 0
		.amdhsa_exception_int_div_zero 0
	.end_amdhsa_kernel
	.text
.Lfunc_end0:
	.size	fft_rtc_back_len1386_factors_2_7_3_11_3_wgs_231_tpt_231_halfLds_dp_ip_CI_unitstride_sbrr_R2C_dirReg, .Lfunc_end0-fft_rtc_back_len1386_factors_2_7_3_11_3_wgs_231_tpt_231_halfLds_dp_ip_CI_unitstride_sbrr_R2C_dirReg
                                        ; -- End function
	.section	.AMDGPU.csdata,"",@progbits
; Kernel info:
; codeLenInByte = 8820
; NumSgprs: 33
; NumVgprs: 249
; ScratchSize: 0
; MemoryBound: 0
; FloatMode: 240
; IeeeMode: 1
; LDSByteSize: 0 bytes/workgroup (compile time only)
; SGPRBlocks: 4
; VGPRBlocks: 31
; NumSGPRsForWavesPerEU: 33
; NumVGPRsForWavesPerEU: 249
; Occupancy: 4
; WaveLimiterHint : 1
; COMPUTE_PGM_RSRC2:SCRATCH_EN: 0
; COMPUTE_PGM_RSRC2:USER_SGPR: 6
; COMPUTE_PGM_RSRC2:TRAP_HANDLER: 0
; COMPUTE_PGM_RSRC2:TGID_X_EN: 1
; COMPUTE_PGM_RSRC2:TGID_Y_EN: 0
; COMPUTE_PGM_RSRC2:TGID_Z_EN: 0
; COMPUTE_PGM_RSRC2:TIDIG_COMP_CNT: 0
	.text
	.p2alignl 6, 3214868480
	.fill 48, 4, 3214868480
	.type	__hip_cuid_40e53dfc22798ffa,@object ; @__hip_cuid_40e53dfc22798ffa
	.section	.bss,"aw",@nobits
	.globl	__hip_cuid_40e53dfc22798ffa
__hip_cuid_40e53dfc22798ffa:
	.byte	0                               ; 0x0
	.size	__hip_cuid_40e53dfc22798ffa, 1

	.ident	"AMD clang version 19.0.0git (https://github.com/RadeonOpenCompute/llvm-project roc-6.4.0 25133 c7fe45cf4b819c5991fe208aaa96edf142730f1d)"
	.section	".note.GNU-stack","",@progbits
	.addrsig
	.addrsig_sym __hip_cuid_40e53dfc22798ffa
	.amdgpu_metadata
---
amdhsa.kernels:
  - .args:
      - .actual_access:  read_only
        .address_space:  global
        .offset:         0
        .size:           8
        .value_kind:     global_buffer
      - .offset:         8
        .size:           8
        .value_kind:     by_value
      - .actual_access:  read_only
        .address_space:  global
        .offset:         16
        .size:           8
        .value_kind:     global_buffer
      - .actual_access:  read_only
        .address_space:  global
        .offset:         24
        .size:           8
        .value_kind:     global_buffer
      - .offset:         32
        .size:           8
        .value_kind:     by_value
      - .actual_access:  read_only
        .address_space:  global
        .offset:         40
        .size:           8
        .value_kind:     global_buffer
      - .actual_access:  read_only
        .address_space:  global
        .offset:         48
        .size:           8
        .value_kind:     global_buffer
      - .offset:         56
        .size:           4
        .value_kind:     by_value
      - .actual_access:  read_only
        .address_space:  global
        .offset:         64
        .size:           8
        .value_kind:     global_buffer
      - .actual_access:  read_only
        .address_space:  global
        .offset:         72
        .size:           8
        .value_kind:     global_buffer
      - .address_space:  global
        .offset:         80
        .size:           8
        .value_kind:     global_buffer
    .group_segment_fixed_size: 0
    .kernarg_segment_align: 8
    .kernarg_segment_size: 88
    .language:       OpenCL C
    .language_version:
      - 2
      - 0
    .max_flat_workgroup_size: 231
    .name:           fft_rtc_back_len1386_factors_2_7_3_11_3_wgs_231_tpt_231_halfLds_dp_ip_CI_unitstride_sbrr_R2C_dirReg
    .private_segment_fixed_size: 0
    .sgpr_count:     33
    .sgpr_spill_count: 0
    .symbol:         fft_rtc_back_len1386_factors_2_7_3_11_3_wgs_231_tpt_231_halfLds_dp_ip_CI_unitstride_sbrr_R2C_dirReg.kd
    .uniform_work_group_size: 1
    .uses_dynamic_stack: false
    .vgpr_count:     249
    .vgpr_spill_count: 0
    .wavefront_size: 32
    .workgroup_processor_mode: 1
amdhsa.target:   amdgcn-amd-amdhsa--gfx1030
amdhsa.version:
  - 1
  - 2
...

	.end_amdgpu_metadata
